;; amdgpu-corpus repo=ROCm/rocFFT kind=compiled arch=gfx1201 opt=O3
	.text
	.amdgcn_target "amdgcn-amd-amdhsa--gfx1201"
	.amdhsa_code_object_version 6
	.protected	fft_rtc_fwd_len1728_factors_3_6_6_16_wgs_108_tpt_108_halfLds_half_op_CI_CI_unitstride_sbrr_dirReg ; -- Begin function fft_rtc_fwd_len1728_factors_3_6_6_16_wgs_108_tpt_108_halfLds_half_op_CI_CI_unitstride_sbrr_dirReg
	.globl	fft_rtc_fwd_len1728_factors_3_6_6_16_wgs_108_tpt_108_halfLds_half_op_CI_CI_unitstride_sbrr_dirReg
	.p2align	8
	.type	fft_rtc_fwd_len1728_factors_3_6_6_16_wgs_108_tpt_108_halfLds_half_op_CI_CI_unitstride_sbrr_dirReg,@function
fft_rtc_fwd_len1728_factors_3_6_6_16_wgs_108_tpt_108_halfLds_half_op_CI_CI_unitstride_sbrr_dirReg: ; @fft_rtc_fwd_len1728_factors_3_6_6_16_wgs_108_tpt_108_halfLds_half_op_CI_CI_unitstride_sbrr_dirReg
; %bb.0:
	s_clause 0x2
	s_load_b128 s[8:11], s[0:1], 0x0
	s_load_b128 s[4:7], s[0:1], 0x58
	;; [unrolled: 1-line block ×3, first 2 shown]
	v_mul_u32_u24_e32 v1, 0x25f, v0
	v_mov_b32_e32 v8, 0
	v_mov_b32_e32 v6, 0
	;; [unrolled: 1-line block ×3, first 2 shown]
	s_delay_alu instid0(VALU_DEP_4) | instskip(NEXT) | instid1(VALU_DEP_1)
	v_lshrrev_b32_e32 v1, 16, v1
	v_dual_mov_b32 v11, v8 :: v_dual_add_nc_u32 v10, ttmp9, v1
	s_wait_kmcnt 0x0
	v_cmp_lt_u64_e64 s2, s[10:11], 2
	s_delay_alu instid0(VALU_DEP_1)
	s_and_b32 vcc_lo, exec_lo, s2
	s_cbranch_vccnz .LBB0_8
; %bb.1:
	s_load_b64 s[2:3], s[0:1], 0x10
	v_mov_b32_e32 v6, 0
	v_mov_b32_e32 v7, 0
	s_delay_alu instid0(VALU_DEP_2)
	v_mov_b32_e32 v1, v6
	s_add_nc_u64 s[16:17], s[14:15], 8
	s_add_nc_u64 s[18:19], s[12:13], 8
	s_mov_b64 s[20:21], 1
	v_mov_b32_e32 v2, v7
	s_wait_kmcnt 0x0
	s_add_nc_u64 s[22:23], s[2:3], 8
	s_mov_b32 s3, 0
.LBB0_2:                                ; =>This Inner Loop Header: Depth=1
	s_load_b64 s[24:25], s[22:23], 0x0
                                        ; implicit-def: $vgpr3_vgpr4
	s_mov_b32 s2, exec_lo
	s_wait_kmcnt 0x0
	v_or_b32_e32 v9, s25, v11
	s_delay_alu instid0(VALU_DEP_1)
	v_cmpx_ne_u64_e32 0, v[8:9]
	s_wait_alu 0xfffe
	s_xor_b32 s26, exec_lo, s2
	s_cbranch_execz .LBB0_4
; %bb.3:                                ;   in Loop: Header=BB0_2 Depth=1
	s_cvt_f32_u32 s2, s24
	s_cvt_f32_u32 s27, s25
	s_sub_nc_u64 s[30:31], 0, s[24:25]
	s_wait_alu 0xfffe
	s_delay_alu instid0(SALU_CYCLE_1) | instskip(SKIP_1) | instid1(SALU_CYCLE_2)
	s_fmamk_f32 s2, s27, 0x4f800000, s2
	s_wait_alu 0xfffe
	v_s_rcp_f32 s2, s2
	s_delay_alu instid0(TRANS32_DEP_1) | instskip(SKIP_1) | instid1(SALU_CYCLE_2)
	s_mul_f32 s2, s2, 0x5f7ffffc
	s_wait_alu 0xfffe
	s_mul_f32 s27, s2, 0x2f800000
	s_wait_alu 0xfffe
	s_delay_alu instid0(SALU_CYCLE_2) | instskip(SKIP_1) | instid1(SALU_CYCLE_2)
	s_trunc_f32 s27, s27
	s_wait_alu 0xfffe
	s_fmamk_f32 s2, s27, 0xcf800000, s2
	s_cvt_u32_f32 s29, s27
	s_wait_alu 0xfffe
	s_delay_alu instid0(SALU_CYCLE_1) | instskip(SKIP_1) | instid1(SALU_CYCLE_2)
	s_cvt_u32_f32 s28, s2
	s_wait_alu 0xfffe
	s_mul_u64 s[34:35], s[30:31], s[28:29]
	s_wait_alu 0xfffe
	s_mul_hi_u32 s37, s28, s35
	s_mul_i32 s36, s28, s35
	s_mul_hi_u32 s2, s28, s34
	s_mul_i32 s33, s29, s34
	s_wait_alu 0xfffe
	s_add_nc_u64 s[36:37], s[2:3], s[36:37]
	s_mul_hi_u32 s27, s29, s34
	s_mul_hi_u32 s38, s29, s35
	s_add_co_u32 s2, s36, s33
	s_wait_alu 0xfffe
	s_add_co_ci_u32 s2, s37, s27
	s_mul_i32 s34, s29, s35
	s_add_co_ci_u32 s35, s38, 0
	s_wait_alu 0xfffe
	s_add_nc_u64 s[34:35], s[2:3], s[34:35]
	s_wait_alu 0xfffe
	v_add_co_u32 v3, s2, s28, s34
	s_delay_alu instid0(VALU_DEP_1) | instskip(SKIP_1) | instid1(VALU_DEP_1)
	s_cmp_lg_u32 s2, 0
	s_add_co_ci_u32 s29, s29, s35
	v_readfirstlane_b32 s28, v3
	s_wait_alu 0xfffe
	s_delay_alu instid0(VALU_DEP_1)
	s_mul_u64 s[30:31], s[30:31], s[28:29]
	s_wait_alu 0xfffe
	s_mul_hi_u32 s35, s28, s31
	s_mul_i32 s34, s28, s31
	s_mul_hi_u32 s2, s28, s30
	s_mul_i32 s33, s29, s30
	s_wait_alu 0xfffe
	s_add_nc_u64 s[34:35], s[2:3], s[34:35]
	s_mul_hi_u32 s27, s29, s30
	s_mul_hi_u32 s28, s29, s31
	s_wait_alu 0xfffe
	s_add_co_u32 s2, s34, s33
	s_add_co_ci_u32 s2, s35, s27
	s_mul_i32 s30, s29, s31
	s_add_co_ci_u32 s31, s28, 0
	s_wait_alu 0xfffe
	s_add_nc_u64 s[30:31], s[2:3], s[30:31]
	s_wait_alu 0xfffe
	v_add_co_u32 v5, s2, v3, s30
	s_delay_alu instid0(VALU_DEP_1) | instskip(SKIP_1) | instid1(VALU_DEP_1)
	s_cmp_lg_u32 s2, 0
	s_add_co_ci_u32 s2, s29, s31
	v_mul_hi_u32 v9, v10, v5
	s_wait_alu 0xfffe
	v_mad_co_u64_u32 v[3:4], null, v10, s2, 0
	v_mad_co_u64_u32 v[12:13], null, v11, v5, 0
	;; [unrolled: 1-line block ×3, first 2 shown]
	s_delay_alu instid0(VALU_DEP_3) | instskip(SKIP_1) | instid1(VALU_DEP_4)
	v_add_co_u32 v3, vcc_lo, v9, v3
	s_wait_alu 0xfffd
	v_add_co_ci_u32_e32 v4, vcc_lo, 0, v4, vcc_lo
	s_delay_alu instid0(VALU_DEP_2) | instskip(SKIP_1) | instid1(VALU_DEP_2)
	v_add_co_u32 v3, vcc_lo, v3, v12
	s_wait_alu 0xfffd
	v_add_co_ci_u32_e32 v3, vcc_lo, v4, v13, vcc_lo
	s_wait_alu 0xfffd
	v_add_co_ci_u32_e32 v4, vcc_lo, 0, v15, vcc_lo
	s_delay_alu instid0(VALU_DEP_2) | instskip(SKIP_1) | instid1(VALU_DEP_2)
	v_add_co_u32 v5, vcc_lo, v3, v14
	s_wait_alu 0xfffd
	v_add_co_ci_u32_e32 v9, vcc_lo, 0, v4, vcc_lo
	s_delay_alu instid0(VALU_DEP_2) | instskip(SKIP_1) | instid1(VALU_DEP_3)
	v_mul_lo_u32 v12, s25, v5
	v_mad_co_u64_u32 v[3:4], null, s24, v5, 0
	v_mul_lo_u32 v13, s24, v9
	s_delay_alu instid0(VALU_DEP_2) | instskip(NEXT) | instid1(VALU_DEP_2)
	v_sub_co_u32 v3, vcc_lo, v10, v3
	v_add3_u32 v4, v4, v13, v12
	s_delay_alu instid0(VALU_DEP_1) | instskip(SKIP_1) | instid1(VALU_DEP_1)
	v_sub_nc_u32_e32 v12, v11, v4
	s_wait_alu 0xfffd
	v_subrev_co_ci_u32_e64 v12, s2, s25, v12, vcc_lo
	v_add_co_u32 v13, s2, v5, 2
	s_wait_alu 0xf1ff
	v_add_co_ci_u32_e64 v14, s2, 0, v9, s2
	v_sub_co_u32 v15, s2, v3, s24
	v_sub_co_ci_u32_e32 v4, vcc_lo, v11, v4, vcc_lo
	s_wait_alu 0xf1ff
	v_subrev_co_ci_u32_e64 v12, s2, 0, v12, s2
	s_delay_alu instid0(VALU_DEP_3) | instskip(NEXT) | instid1(VALU_DEP_3)
	v_cmp_le_u32_e32 vcc_lo, s24, v15
	v_cmp_eq_u32_e64 s2, s25, v4
	s_wait_alu 0xfffd
	v_cndmask_b32_e64 v15, 0, -1, vcc_lo
	v_cmp_le_u32_e32 vcc_lo, s25, v12
	s_wait_alu 0xfffd
	v_cndmask_b32_e64 v16, 0, -1, vcc_lo
	v_cmp_le_u32_e32 vcc_lo, s24, v3
	;; [unrolled: 3-line block ×3, first 2 shown]
	s_wait_alu 0xfffd
	v_cndmask_b32_e64 v17, 0, -1, vcc_lo
	v_cmp_eq_u32_e32 vcc_lo, s25, v12
	s_wait_alu 0xf1ff
	s_delay_alu instid0(VALU_DEP_2)
	v_cndmask_b32_e64 v3, v17, v3, s2
	s_wait_alu 0xfffd
	v_cndmask_b32_e32 v12, v16, v15, vcc_lo
	v_add_co_u32 v15, vcc_lo, v5, 1
	s_wait_alu 0xfffd
	v_add_co_ci_u32_e32 v16, vcc_lo, 0, v9, vcc_lo
	s_delay_alu instid0(VALU_DEP_3) | instskip(SKIP_2) | instid1(VALU_DEP_3)
	v_cmp_ne_u32_e32 vcc_lo, 0, v12
	s_wait_alu 0xfffd
	v_cndmask_b32_e32 v12, v15, v13, vcc_lo
	v_cndmask_b32_e32 v4, v16, v14, vcc_lo
	v_cmp_ne_u32_e32 vcc_lo, 0, v3
	s_wait_alu 0xfffd
	s_delay_alu instid0(VALU_DEP_3) | instskip(NEXT) | instid1(VALU_DEP_3)
	v_cndmask_b32_e32 v3, v5, v12, vcc_lo
	v_cndmask_b32_e32 v4, v9, v4, vcc_lo
.LBB0_4:                                ;   in Loop: Header=BB0_2 Depth=1
	s_wait_alu 0xfffe
	s_and_not1_saveexec_b32 s2, s26
	s_cbranch_execz .LBB0_6
; %bb.5:                                ;   in Loop: Header=BB0_2 Depth=1
	v_cvt_f32_u32_e32 v3, s24
	s_sub_co_i32 s26, 0, s24
	s_delay_alu instid0(VALU_DEP_1) | instskip(NEXT) | instid1(TRANS32_DEP_1)
	v_rcp_iflag_f32_e32 v3, v3
	v_mul_f32_e32 v3, 0x4f7ffffe, v3
	s_delay_alu instid0(VALU_DEP_1) | instskip(SKIP_1) | instid1(VALU_DEP_1)
	v_cvt_u32_f32_e32 v3, v3
	s_wait_alu 0xfffe
	v_mul_lo_u32 v4, s26, v3
	s_delay_alu instid0(VALU_DEP_1) | instskip(NEXT) | instid1(VALU_DEP_1)
	v_mul_hi_u32 v4, v3, v4
	v_add_nc_u32_e32 v3, v3, v4
	s_delay_alu instid0(VALU_DEP_1) | instskip(NEXT) | instid1(VALU_DEP_1)
	v_mul_hi_u32 v3, v10, v3
	v_mul_lo_u32 v4, v3, s24
	v_add_nc_u32_e32 v5, 1, v3
	s_delay_alu instid0(VALU_DEP_2) | instskip(NEXT) | instid1(VALU_DEP_1)
	v_sub_nc_u32_e32 v4, v10, v4
	v_subrev_nc_u32_e32 v9, s24, v4
	v_cmp_le_u32_e32 vcc_lo, s24, v4
	s_wait_alu 0xfffd
	s_delay_alu instid0(VALU_DEP_2) | instskip(SKIP_1) | instid1(VALU_DEP_2)
	v_cndmask_b32_e32 v4, v4, v9, vcc_lo
	v_cndmask_b32_e32 v3, v3, v5, vcc_lo
	v_cmp_le_u32_e32 vcc_lo, s24, v4
	s_delay_alu instid0(VALU_DEP_2) | instskip(SKIP_1) | instid1(VALU_DEP_1)
	v_dual_mov_b32 v4, v8 :: v_dual_add_nc_u32 v5, 1, v3
	s_wait_alu 0xfffd
	v_cndmask_b32_e32 v3, v3, v5, vcc_lo
.LBB0_6:                                ;   in Loop: Header=BB0_2 Depth=1
	s_wait_alu 0xfffe
	s_or_b32 exec_lo, exec_lo, s2
	v_mul_lo_u32 v5, v4, s24
	s_delay_alu instid0(VALU_DEP_2)
	v_mul_lo_u32 v9, v3, s25
	s_load_b64 s[26:27], s[18:19], 0x0
	v_mad_co_u64_u32 v[12:13], null, v3, s24, 0
	s_load_b64 s[24:25], s[16:17], 0x0
	s_add_nc_u64 s[20:21], s[20:21], 1
	s_add_nc_u64 s[16:17], s[16:17], 8
	s_wait_alu 0xfffe
	v_cmp_ge_u64_e64 s2, s[20:21], s[10:11]
	s_add_nc_u64 s[18:19], s[18:19], 8
	s_add_nc_u64 s[22:23], s[22:23], 8
	v_add3_u32 v5, v13, v9, v5
	v_sub_co_u32 v9, vcc_lo, v10, v12
	s_wait_alu 0xfffd
	s_delay_alu instid0(VALU_DEP_2) | instskip(SKIP_2) | instid1(VALU_DEP_1)
	v_sub_co_ci_u32_e32 v5, vcc_lo, v11, v5, vcc_lo
	s_and_b32 vcc_lo, exec_lo, s2
	s_wait_kmcnt 0x0
	v_mul_lo_u32 v10, s26, v5
	v_mul_lo_u32 v11, s27, v9
	v_mad_co_u64_u32 v[6:7], null, s26, v9, v[6:7]
	v_mul_lo_u32 v5, s24, v5
	v_mul_lo_u32 v12, s25, v9
	v_mad_co_u64_u32 v[1:2], null, s24, v9, v[1:2]
	s_delay_alu instid0(VALU_DEP_4) | instskip(NEXT) | instid1(VALU_DEP_2)
	v_add3_u32 v7, v11, v7, v10
	v_add3_u32 v2, v12, v2, v5
	s_wait_alu 0xfffe
	s_cbranch_vccnz .LBB0_9
; %bb.7:                                ;   in Loop: Header=BB0_2 Depth=1
	v_dual_mov_b32 v11, v4 :: v_dual_mov_b32 v10, v3
	s_branch .LBB0_2
.LBB0_8:
	v_dual_mov_b32 v1, v6 :: v_dual_mov_b32 v2, v7
	v_dual_mov_b32 v3, v10 :: v_dual_mov_b32 v4, v11
.LBB0_9:
	s_load_b64 s[0:1], s[0:1], 0x28
	v_mul_hi_u32 v22, 0x25ed098, v0
	s_lshl_b64 s[10:11], s[10:11], 3
                                        ; implicit-def: $vgpr8
	s_wait_alu 0xfffe
	s_add_nc_u64 s[2:3], s[14:15], s[10:11]
                                        ; implicit-def: $sgpr14
	s_wait_kmcnt 0x0
	v_cmp_gt_u64_e32 vcc_lo, s[0:1], v[3:4]
	v_cmp_le_u64_e64 s0, s[0:1], v[3:4]
	s_delay_alu instid0(VALU_DEP_1)
	s_and_saveexec_b32 s1, s0
	s_wait_alu 0xfffe
	s_xor_b32 s0, exec_lo, s1
; %bb.10:
	v_mul_u32_u24_e32 v5, 0x6c, v22
	s_mov_b32 s14, 0
                                        ; implicit-def: $vgpr22
                                        ; implicit-def: $vgpr6_vgpr7
	s_delay_alu instid0(VALU_DEP_1)
	v_sub_nc_u32_e32 v8, v0, v5
                                        ; implicit-def: $vgpr0
; %bb.11:
	s_wait_alu 0xfffe
	s_or_saveexec_b32 s1, s0
	s_load_b64 s[2:3], s[2:3], 0x0
	v_mov_b32_e32 v5, s14
                                        ; implicit-def: $vgpr13
                                        ; implicit-def: $vgpr19
                                        ; implicit-def: $vgpr54
                                        ; implicit-def: $vgpr43
                                        ; implicit-def: $vgpr49
                                        ; implicit-def: $vgpr45
                                        ; implicit-def: $vgpr17
                                        ; implicit-def: $vgpr25
                                        ; implicit-def: $vgpr55
                                        ; implicit-def: $vgpr39
                                        ; implicit-def: $vgpr52
                                        ; implicit-def: $vgpr44
                                        ; implicit-def: $vgpr40
                                        ; implicit-def: $vgpr20
                                        ; implicit-def: $vgpr53
                                        ; implicit-def: $vgpr14
                                        ; implicit-def: $vgpr48
                                        ; implicit-def: $vgpr35
                                        ; implicit-def: $vgpr42
                                        ; implicit-def: $vgpr26
                                        ; implicit-def: $vgpr51
                                        ; implicit-def: $vgpr18
                                        ; implicit-def: $vgpr50
                                        ; implicit-def: $vgpr36
                                        ; implicit-def: $vgpr12
                                        ; implicit-def: $vgpr9
                                        ; implicit-def: $vgpr47
                                        ; implicit-def: $vgpr15
                                        ; implicit-def: $vgpr46
                                        ; implicit-def: $vgpr16
                                        ; implicit-def: $vgpr11
                                        ; implicit-def: $vgpr10
                                        ; implicit-def: $vgpr37
                                        ; implicit-def: $vgpr38
                                        ; implicit-def: $vgpr41
                                        ; implicit-def: $vgpr21
	s_xor_b32 exec_lo, exec_lo, s1
	s_cbranch_execz .LBB0_15
; %bb.12:
	s_add_nc_u64 s[10:11], s[12:13], s[10:11]
	v_mul_u32_u24_e32 v11, 0x6c, v22
	s_load_b64 s[10:11], s[10:11], 0x0
                                        ; implicit-def: $vgpr21
                                        ; implicit-def: $vgpr41
                                        ; implicit-def: $vgpr38
                                        ; implicit-def: $vgpr37
	s_wait_kmcnt 0x0
	v_mul_lo_u32 v5, s11, v3
	v_mul_lo_u32 v10, s10, v4
	v_mad_co_u64_u32 v[8:9], null, s10, v3, 0
	s_delay_alu instid0(VALU_DEP_1) | instskip(SKIP_1) | instid1(VALU_DEP_2)
	v_add3_u32 v9, v9, v10, v5
	v_lshlrev_b64_e32 v[5:6], 2, v[6:7]
	v_lshlrev_b64_e32 v[9:10], 2, v[8:9]
	v_sub_nc_u32_e32 v8, v0, v11
                                        ; implicit-def: $vgpr11
	s_delay_alu instid0(VALU_DEP_2) | instskip(SKIP_1) | instid1(VALU_DEP_3)
	v_add_co_u32 v0, s0, s4, v9
	s_wait_alu 0xf1ff
	v_add_co_ci_u32_e64 v7, s0, s5, v10, s0
	s_delay_alu instid0(VALU_DEP_3) | instskip(NEXT) | instid1(VALU_DEP_3)
	v_lshlrev_b32_e32 v9, 2, v8
	v_add_co_u32 v0, s0, v0, v5
	s_wait_alu 0xf1ff
	s_delay_alu instid0(VALU_DEP_3) | instskip(SKIP_1) | instid1(VALU_DEP_2)
	v_add_co_ci_u32_e64 v6, s0, v7, v6, s0
	s_mov_b32 s4, exec_lo
	v_add_co_u32 v5, s0, v0, v9
	s_wait_alu 0xf1ff
	s_delay_alu instid0(VALU_DEP_2)
	v_add_co_ci_u32_e64 v6, s0, 0, v6, s0
                                        ; implicit-def: $vgpr10
	s_clause 0xe
	global_load_b32 v39, v[5:6], off offset:2736
	global_load_b32 v14, v[5:6], off offset:3168
	global_load_b32 v19, v[5:6], off
	global_load_b32 v25, v[5:6], off offset:432
	global_load_b32 v20, v[5:6], off offset:864
	;; [unrolled: 1-line block ×12, first 2 shown]
	v_cmpx_gt_u32_e32 36, v8
	s_cbranch_execz .LBB0_14
; %bb.13:
	s_clause 0x2
	global_load_b32 v10, v[5:6], off offset:2160
	global_load_b32 v21, v[5:6], off offset:4464
	;; [unrolled: 1-line block ×3, first 2 shown]
	s_wait_loadcnt 0x2
	v_lshrrev_b32_e32 v11, 16, v10
	s_wait_loadcnt 0x1
	v_lshrrev_b32_e32 v41, 16, v21
	;; [unrolled: 2-line block ×3, first 2 shown]
.LBB0_14:
	s_wait_alu 0xfffe
	s_or_b32 exec_lo, exec_lo, s4
	s_wait_loadcnt 0xc
	v_lshrrev_b32_e32 v13, 16, v19
	s_wait_loadcnt 0x7
	v_lshrrev_b32_e32 v54, 16, v43
	;; [unrolled: 2-line block ×3, first 2 shown]
	v_lshrrev_b32_e32 v17, 16, v25
	v_lshrrev_b32_e32 v55, 16, v39
	;; [unrolled: 1-line block ×10, first 2 shown]
	s_wait_loadcnt 0x0
	v_lshrrev_b32_e32 v47, 16, v15
	v_lshrrev_b32_e32 v46, 16, v16
	v_mov_b32_e32 v5, v8
.LBB0_15:
	s_or_b32 exec_lo, exec_lo, s1
	v_add_f16_e32 v0, v43, v45
	v_add_f16_e32 v6, v19, v43
	v_sub_f16_e32 v7, v54, v49
	v_add_f16_e32 v22, v39, v44
	v_sub_f16_e32 v23, v55, v52
	v_fmac_f16_e32 v19, -0.5, v0
	v_add_f16_e32 v0, v25, v39
	v_add_f16_e32 v27, v6, v45
	v_fmac_f16_e32 v25, -0.5, v22
	v_add_f16_e32 v6, v14, v35
	v_fmamk_f16 v28, v7, 0x3aee, v19
	v_fmac_f16_e32 v19, 0xbaee, v7
	v_add_f16_e32 v7, v20, v14
	v_add_f16_e32 v22, v18, v36
	v_fmac_f16_e32 v20, -0.5, v6
	v_sub_f16_e32 v6, v53, v48
	v_fmamk_f16 v29, v23, 0x3aee, v25
	v_add_f16_e32 v30, v7, v35
	v_add_f16_e32 v7, v26, v18
	v_fmac_f16_e32 v26, -0.5, v22
	v_sub_f16_e32 v22, v51, v50
	v_fmamk_f16 v31, v6, 0x3aee, v20
	v_fmac_f16_e32 v20, 0xbaee, v6
	v_add_f16_e32 v6, v15, v16
	v_fmac_f16_e32 v25, 0xbaee, v23
	v_fmamk_f16 v33, v22, 0x3aee, v26
	v_fmac_f16_e32 v26, 0xbaee, v22
	v_add_f16_e32 v22, v38, v21
	v_add_f16_e32 v32, v7, v36
	;; [unrolled: 1-line block ×3, first 2 shown]
	v_fmac_f16_e32 v9, -0.5, v6
	v_sub_f16_e32 v23, v47, v46
	v_add_f16_e32 v24, v10, v21
	v_fmac_f16_e32 v10, -0.5, v22
	v_sub_f16_e32 v34, v41, v37
	v_add_f16_e32 v6, v7, v16
	v_fmamk_f16 v22, v23, 0x3aee, v9
	v_mad_u32_u24 v7, v8, 6, 0
	v_fmac_f16_e32 v9, 0xbaee, v23
	v_add_f16_e32 v23, v38, v24
	v_fmamk_f16 v24, v34, 0x3aee, v10
	v_fmac_f16_e32 v10, 0xbaee, v34
	v_cmp_gt_u32_e64 s1, 36, v8
	v_add_f16_e32 v0, v0, v44
	ds_store_b16 v7, v27
	ds_store_b16 v7, v28 offset:2
	ds_store_b16 v7, v19 offset:4
	;; [unrolled: 1-line block ×14, first 2 shown]
	s_and_saveexec_b32 s0, s1
	s_cbranch_execz .LBB0_17
; %bb.16:
	ds_store_b16 v7, v23 offset:3240
	ds_store_b16 v7, v24 offset:3242
	;; [unrolled: 1-line block ×3, first 2 shown]
.LBB0_17:
	s_wait_alu 0xfffe
	s_or_b32 exec_lo, exec_lo, s0
	v_lshlrev_b32_e32 v0, 2, v8
	global_wb scope:SCOPE_SE
	s_wait_dscnt 0x0
	s_wait_kmcnt 0x0
	s_barrier_signal -1
	s_barrier_wait -1
	global_inv scope:SCOPE_SE
	v_sub_nc_u32_e32 v0, v7, v0
	v_cmp_gt_u32_e64 s0, 0x48, v8
	ds_load_u16 v19, v0
	ds_load_u16 v30, v0 offset:2304
	ds_load_u16 v25, v0 offset:1944
	;; [unrolled: 1-line block ×11, first 2 shown]
	s_and_saveexec_b32 s4, s0
	s_cbranch_execz .LBB0_19
; %bb.18:
	ds_load_u16 v6, v0 offset:432
	ds_load_u16 v22, v0 offset:1008
	;; [unrolled: 1-line block ×6, first 2 shown]
.LBB0_19:
	s_wait_alu 0xfffe
	s_or_b32 exec_lo, exec_lo, s4
	v_add_f16_e32 v56, v54, v49
	v_sub_f16_e32 v43, v43, v45
	v_add_f16_e32 v45, v55, v52
	v_add_f16_e32 v54, v13, v54
	v_add_f16_e32 v55, v17, v55
	v_fmac_f16_e32 v13, -0.5, v56
	v_sub_f16_e32 v39, v39, v44
	v_fmac_f16_e32 v17, -0.5, v45
	v_add_f16_e32 v44, v54, v49
	v_add_f16_e32 v49, v53, v48
	v_fmamk_f16 v45, v43, 0xbaee, v13
	v_fmac_f16_e32 v13, 0x3aee, v43
	v_add_f16_e32 v43, v55, v52
	v_fmamk_f16 v52, v39, 0xbaee, v17
	v_fmac_f16_e32 v17, 0x3aee, v39
	v_add_f16_e32 v39, v51, v50
	v_add_f16_e32 v53, v40, v53
	v_fmac_f16_e32 v40, -0.5, v49
	v_sub_f16_e32 v14, v14, v35
	v_add_f16_e32 v35, v42, v51
	v_fmac_f16_e32 v42, -0.5, v39
	v_sub_f16_e32 v18, v18, v36
	v_sub_f16_e32 v15, v15, v16
	v_fmamk_f16 v39, v14, 0xbaee, v40
	v_fmac_f16_e32 v40, 0x3aee, v14
	v_add_f16_e32 v49, v35, v50
	v_add_f16_e32 v14, v47, v46
	v_fmamk_f16 v50, v18, 0xbaee, v42
	v_fmac_f16_e32 v42, 0x3aee, v18
	v_add_f16_e32 v18, v37, v41
	v_add_f16_e32 v35, v12, v47
	v_fmac_f16_e32 v12, -0.5, v14
	v_add_f16_e32 v16, v11, v41
	v_add_f16_e32 v48, v53, v48
	v_fmac_f16_e32 v11, -0.5, v18
	v_sub_f16_e32 v18, v21, v38
	v_add_f16_e32 v14, v35, v46
	v_fmamk_f16 v35, v15, 0xbaee, v12
	v_fmac_f16_e32 v12, 0x3aee, v15
	v_add_f16_e32 v36, v37, v16
	v_fmamk_f16 v37, v18, 0xbaee, v11
	v_fmac_f16_e32 v11, 0x3aee, v18
	global_wb scope:SCOPE_SE
	s_wait_dscnt 0x0
	s_barrier_signal -1
	s_barrier_wait -1
	global_inv scope:SCOPE_SE
	ds_store_b16 v7, v44
	ds_store_b16 v7, v45 offset:2
	ds_store_b16 v7, v13 offset:4
	;; [unrolled: 1-line block ×14, first 2 shown]
	s_and_saveexec_b32 s4, s1
	s_cbranch_execz .LBB0_21
; %bb.20:
	ds_store_b16 v7, v36 offset:3240
	ds_store_b16 v7, v37 offset:3242
	;; [unrolled: 1-line block ×3, first 2 shown]
.LBB0_21:
	s_wait_alu 0xfffe
	s_or_b32 exec_lo, exec_lo, s4
	global_wb scope:SCOPE_SE
	s_wait_dscnt 0x0
	s_barrier_signal -1
	s_barrier_wait -1
	global_inv scope:SCOPE_SE
	ds_load_u16 v21, v0
	ds_load_u16 v47, v0 offset:2304
	ds_load_u16 v38, v0 offset:1944
	;; [unrolled: 1-line block ×11, first 2 shown]
	s_and_saveexec_b32 s1, s0
	s_cbranch_execz .LBB0_23
; %bb.22:
	ds_load_u16 v14, v0 offset:432
	ds_load_u16 v35, v0 offset:1008
	;; [unrolled: 1-line block ×6, first 2 shown]
.LBB0_23:
	s_wait_alu 0xfffe
	s_or_b32 exec_lo, exec_lo, s1
	v_and_b32_e32 v15, 0xff, v8
	v_add_nc_u16 v7, v8, 0x6c
	s_delay_alu instid0(VALU_DEP_2) | instskip(NEXT) | instid1(VALU_DEP_2)
	v_mul_lo_u16 v13, 0xab, v15
	v_and_b32_e32 v16, 0xff, v7
	s_delay_alu instid0(VALU_DEP_2) | instskip(SKIP_1) | instid1(VALU_DEP_3)
	v_lshrrev_b16 v41, 9, v13
	v_add_nc_u32_e32 v13, 0xd8, v8
	v_mul_lo_u16 v45, 0xab, v16
	s_delay_alu instid0(VALU_DEP_3) | instskip(NEXT) | instid1(VALU_DEP_3)
	v_mul_lo_u16 v42, v41, 3
	v_and_b32_e32 v17, 0xffff, v13
	s_delay_alu instid0(VALU_DEP_3) | instskip(SKIP_1) | instid1(VALU_DEP_4)
	v_lshrrev_b16 v45, 9, v45
	v_and_b32_e32 v41, 0xffff, v41
	v_sub_nc_u16 v42, v8, v42
	s_delay_alu instid0(VALU_DEP_4) | instskip(NEXT) | instid1(VALU_DEP_4)
	v_mul_u32_u24_e32 v46, 0xaaab, v17
	v_mul_lo_u16 v52, v45, 3
	v_and_b32_e32 v45, 0xffff, v45
	s_delay_alu instid0(VALU_DEP_4) | instskip(NEXT) | instid1(VALU_DEP_4)
	v_and_b32_e32 v42, 0xff, v42
	v_lshrrev_b32_e32 v46, 17, v46
	s_delay_alu instid0(VALU_DEP_4) | instskip(NEXT) | instid1(VALU_DEP_4)
	v_sub_nc_u16 v52, v7, v52
	v_mul_u32_u24_e32 v45, 36, v45
	s_delay_alu instid0(VALU_DEP_4) | instskip(NEXT) | instid1(VALU_DEP_4)
	v_mul_u32_u24_e32 v53, 5, v42
	v_mul_lo_u16 v54, v46, 3
	s_delay_alu instid0(VALU_DEP_4) | instskip(SKIP_1) | instid1(VALU_DEP_4)
	v_and_b32_e32 v52, 0xff, v52
	v_lshlrev_b32_e32 v42, 1, v42
	v_lshlrev_b32_e32 v53, 2, v53
	s_delay_alu instid0(VALU_DEP_4) | instskip(NEXT) | instid1(VALU_DEP_4)
	v_sub_nc_u16 v54, v13, v54
	v_mul_u32_u24_e32 v55, 5, v52
	v_lshlrev_b32_e32 v52, 1, v52
	global_load_b128 v[64:67], v53, s[8:9]
	v_and_b32_e32 v54, 0xffff, v54
	global_load_b32 v53, v53, s[8:9] offset:16
	v_lshlrev_b32_e32 v55, 2, v55
	v_add3_u32 v45, 0, v45, v52
	v_mul_u32_u24_e32 v56, 5, v54
	s_delay_alu instid0(VALU_DEP_1)
	v_lshlrev_b32_e32 v56, 2, v56
	s_clause 0x3
	global_load_b128 v[68:71], v55, s[8:9]
	global_load_b32 v76, v55, s[8:9] offset:16
	global_load_b128 v[72:75], v56, s[8:9]
	global_load_b32 v77, v56, s[8:9] offset:16
	v_mul_u32_u24_e32 v55, 36, v41
	v_mul_lo_u16 v41, v46, 18
	global_wb scope:SCOPE_SE
	s_wait_loadcnt_dscnt 0x0
	s_barrier_signal -1
	s_barrier_wait -1
	v_add3_u32 v46, 0, v55, v42
	v_lshlrev_b32_e32 v42, 1, v54
	global_inv scope:SCOPE_SE
	v_lshrrev_b32_e32 v52, 16, v64
	v_lshrrev_b32_e32 v54, 16, v65
	;; [unrolled: 1-line block ×5, first 2 shown]
	v_mul_f16_e32 v58, v51, v52
	v_mul_f16_e32 v59, v34, v52
	;; [unrolled: 1-line block ×10, first 2 shown]
	v_lshrrev_b32_e32 v57, 16, v68
	v_lshrrev_b32_e32 v79, 16, v69
	;; [unrolled: 1-line block ×10, first 2 shown]
	v_fma_f16 v62, v34, v64, -v58
	v_fmac_f16_e32 v59, v51, v64
	v_fma_f16 v64, v32, v65, -v52
	v_fmac_f16_e32 v63, v49, v65
	;; [unrolled: 2-line block ×5, first 2 shown]
	v_mul_f16_e32 v32, v43, v57
	v_mul_f16_e32 v53, v28, v57
	;; [unrolled: 1-line block ×20, first 2 shown]
	v_fmac_f16_e32 v53, v43, v68
	v_fma_f16 v43, v26, v69, -v33
	v_fmac_f16_e32 v61, v39, v69
	v_fma_f16 v25, v25, v70, -v34
	;; [unrolled: 2-line block ×3, first 2 shown]
	v_fma_f16 v26, v27, v76, -v67
	v_fmac_f16_e32 v52, v40, v76
	v_fma_f16 v38, v22, v72, -v78
	v_fmac_f16_e32 v48, v35, v72
	v_fma_f16 v35, v9, v73, -v79
	v_fma_f16 v9, v23, v74, -v80
	v_fmac_f16_e32 v49, v36, v74
	v_fma_f16 v36, v24, v75, -v81
	v_fma_f16 v10, v10, v77, -v82
	v_fmac_f16_e32 v47, v11, v77
	v_add_f16_e32 v24, v31, v30
	v_fma_f16 v58, v28, v68, -v32
	v_fmac_f16_e32 v54, v44, v71
	v_fmac_f16_e32 v51, v12, v73
	;; [unrolled: 1-line block ×3, first 2 shown]
	v_add_f16_e32 v11, v19, v64
	v_add_f16_e32 v12, v64, v65
	;; [unrolled: 1-line block ×4, first 2 shown]
	v_sub_f16_e32 v29, v31, v30
	v_fmac_f16_e32 v62, -0.5, v24
	v_add_f16_e32 v24, v43, v39
	v_add_f16_e32 v31, v25, v26
	;; [unrolled: 1-line block ×7, first 2 shown]
	v_sub_f16_e32 v22, v63, v55
	v_sub_f16_e32 v27, v60, v56
	v_add_f16_e32 v11, v11, v65
	v_fmac_f16_e32 v19, -0.5, v12
	v_add_f16_e32 v12, v23, v30
	v_fma_f16 v66, -0.5, v28, v59
	v_add_f16_e32 v23, v20, v43
	v_sub_f16_e32 v28, v61, v54
	v_add_f16_e32 v30, v58, v25
	v_sub_f16_e32 v32, v57, v52
	v_sub_f16_e32 v25, v25, v26
	v_add_f16_e32 v34, v6, v35
	v_sub_f16_e32 v40, v51, v50
	v_sub_f16_e32 v71, v49, v47
	;; [unrolled: 1-line block ×3, first 2 shown]
	v_fmac_f16_e32 v20, -0.5, v24
	v_fmac_f16_e32 v58, -0.5, v31
	v_fma_f16 v44, -0.5, v33, v53
	v_fmac_f16_e32 v6, -0.5, v37
	v_add_f16_e32 v24, v67, v10
	v_fmac_f16_e32 v38, -0.5, v68
	v_fma_f16 v10, -0.5, v72, v48
	v_fmamk_f16 v73, v22, 0x3aee, v19
	v_fmac_f16_e32 v19, 0xbaee, v22
	v_fmamk_f16 v70, v27, 0x3aee, v62
	v_fmac_f16_e32 v62, 0xbaee, v27
	v_fmamk_f16 v69, v29, 0xbaee, v66
	v_add_f16_e32 v27, v11, v12
	v_sub_f16_e32 v11, v11, v12
	v_add_f16_e32 v12, v23, v39
	v_add_f16_e32 v22, v30, v26
	;; [unrolled: 1-line block ×3, first 2 shown]
	v_fmamk_f16 v30, v28, 0x3aee, v20
	v_fmac_f16_e32 v20, 0xbaee, v28
	v_fmamk_f16 v68, v32, 0x3aee, v58
	v_fmac_f16_e32 v58, 0xbaee, v32
	v_fmamk_f16 v67, v25, 0xbaee, v44
	v_fmamk_f16 v28, v40, 0x3aee, v6
	v_fmac_f16_e32 v6, 0xbaee, v40
	v_fmamk_f16 v40, v71, 0x3aee, v38
	v_fmac_f16_e32 v38, 0xbaee, v71
	;; [unrolled: 2-line block ×3, first 2 shown]
	v_mul_f16_e32 v26, 0x3aee, v69
	v_mul_f16_e32 v29, -0.5, v62
	v_fmac_f16_e32 v44, 0x3aee, v25
	v_add_f16_e32 v25, v12, v22
	v_sub_f16_e32 v12, v12, v22
	v_fmac_f16_e32 v10, 0x3aee, v9
	v_add_f16_e32 v9, v23, v24
	v_sub_f16_e32 v22, v23, v24
	v_mul_f16_e32 v23, 0x3aee, v67
	v_mul_f16_e32 v24, -0.5, v58
	v_mul_f16_e32 v31, 0x3aee, v37
	v_mul_f16_e32 v32, -0.5, v38
	v_fmac_f16_e32 v26, 0.5, v70
	v_fmac_f16_e32 v29, 0x3aee, v66
	v_fmac_f16_e32 v23, 0.5, v68
	v_fmac_f16_e32 v24, 0x3aee, v44
	;; [unrolled: 2-line block ×3, first 2 shown]
	v_add_f16_e32 v33, v73, v26
	v_add_f16_e32 v34, v19, v29
	v_sub_f16_e32 v26, v73, v26
	v_sub_f16_e32 v29, v19, v29
	v_add_f16_e32 v71, v30, v23
	v_add_f16_e32 v72, v20, v24
	v_sub_f16_e32 v30, v30, v23
	v_sub_f16_e32 v73, v20, v24
	v_add_f16_e32 v20, v28, v31
	v_add_f16_e32 v23, v6, v32
	v_sub_f16_e32 v19, v28, v31
	v_sub_f16_e32 v24, v6, v32
	ds_store_b16 v46, v27
	ds_store_b16 v46, v33 offset:6
	ds_store_b16 v46, v34 offset:12
	ds_store_b16 v46, v11 offset:18
	ds_store_b16 v46, v26 offset:24
	ds_store_b16 v46, v29 offset:30
	ds_store_b16 v45, v25
	ds_store_b16 v45, v71 offset:6
	ds_store_b16 v45, v72 offset:12
	;; [unrolled: 1-line block ×5, first 2 shown]
	s_and_saveexec_b32 s1, s0
	s_cbranch_execz .LBB0_25
; %bb.24:
	v_and_b32_e32 v6, 0xffff, v41
	s_delay_alu instid0(VALU_DEP_1) | instskip(NEXT) | instid1(VALU_DEP_1)
	v_lshlrev_b32_e32 v6, 1, v6
	v_add3_u32 v6, 0, v42, v6
	ds_store_b16 v6, v9
	ds_store_b16 v6, v20 offset:6
	ds_store_b16 v6, v23 offset:12
	;; [unrolled: 1-line block ×5, first 2 shown]
.LBB0_25:
	s_wait_alu 0xfffe
	s_or_b32 exec_lo, exec_lo, s1
	global_wb scope:SCOPE_SE
	s_wait_dscnt 0x0
	s_barrier_signal -1
	s_barrier_wait -1
	global_inv scope:SCOPE_SE
	ds_load_u16 v11, v0
	ds_load_u16 v26, v0 offset:2304
	ds_load_u16 v25, v0 offset:1944
	;; [unrolled: 1-line block ×11, first 2 shown]
	v_lshl_add_u32 v6, v8, 1, 0
	s_and_saveexec_b32 s1, s0
	s_cbranch_execz .LBB0_27
; %bb.26:
	ds_load_u16 v20, v0 offset:1008
	ds_load_u16 v23, v0 offset:1584
	;; [unrolled: 1-line block ×6, first 2 shown]
.LBB0_27:
	s_wait_alu 0xfffe
	s_or_b32 exec_lo, exec_lo, s1
	v_add_f16_e32 v71, v63, v55
	v_add_f16_e32 v63, v21, v63
	v_sub_f16_e32 v64, v64, v65
	v_add_f16_e32 v59, v59, v60
	v_mul_f16_e32 v60, 0xbaee, v70
	v_fmac_f16_e32 v21, -0.5, v71
	v_mul_f16_e32 v65, -0.5, v66
	v_add_f16_e32 v55, v63, v55
	v_add_f16_e32 v56, v59, v56
	v_fmac_f16_e32 v60, 0.5, v69
	v_fmamk_f16 v59, v64, 0xbaee, v21
	v_fmac_f16_e32 v65, 0xbaee, v62
	v_fmac_f16_e32 v21, 0x3aee, v64
	v_add_f16_e32 v62, v55, v56
	v_add_f16_e32 v66, v61, v54
	;; [unrolled: 1-line block ×3, first 2 shown]
	v_sub_f16_e32 v55, v55, v56
	v_add_f16_e32 v64, v21, v65
	v_sub_f16_e32 v56, v59, v60
	v_sub_f16_e32 v59, v21, v65
	v_add_f16_e32 v21, v18, v61
	v_add_f16_e32 v53, v53, v57
	v_fmac_f16_e32 v18, -0.5, v66
	v_sub_f16_e32 v39, v43, v39
	v_mul_f16_e32 v40, 0xbaee, v40
	v_add_f16_e32 v21, v21, v54
	v_add_f16_e32 v52, v53, v52
	;; [unrolled: 1-line block ×3, first 2 shown]
	v_fmamk_f16 v53, v39, 0xbaee, v18
	v_fmac_f16_e32 v18, 0x3aee, v39
	v_add_f16_e32 v51, v14, v51
	v_add_f16_e32 v39, v21, v52
	v_sub_f16_e32 v52, v21, v52
	v_fmac_f16_e32 v14, -0.5, v54
	v_sub_f16_e32 v21, v35, v36
	v_add_f16_e32 v35, v48, v49
	v_mul_f16_e32 v48, -0.5, v10
	v_mul_f16_e32 v43, 0xbaee, v68
	v_mul_f16_e32 v44, -0.5, v44
	v_add_f16_e32 v36, v51, v50
	v_fmamk_f16 v49, v21, 0xbaee, v14
	v_fmac_f16_e32 v14, 0x3aee, v21
	v_add_f16_e32 v47, v35, v47
	v_fmac_f16_e32 v40, 0.5, v37
	v_fmac_f16_e32 v48, 0xbaee, v38
	v_fmac_f16_e32 v43, 0.5, v67
	v_fmac_f16_e32 v44, 0xbaee, v58
	v_add_f16_e32 v10, v36, v47
	v_add_f16_e32 v21, v49, v40
	;; [unrolled: 1-line block ×3, first 2 shown]
	v_sub_f16_e32 v36, v36, v47
	v_sub_f16_e32 v37, v49, v40
	;; [unrolled: 1-line block ×3, first 2 shown]
	v_add_f16_e32 v57, v53, v43
	v_add_f16_e32 v58, v18, v44
	v_sub_f16_e32 v43, v53, v43
	v_sub_f16_e32 v18, v18, v44
	global_wb scope:SCOPE_SE
	s_wait_dscnt 0x0
	s_barrier_signal -1
	s_barrier_wait -1
	global_inv scope:SCOPE_SE
	ds_store_b16 v46, v62
	ds_store_b16 v46, v63 offset:6
	ds_store_b16 v46, v64 offset:12
	;; [unrolled: 1-line block ×5, first 2 shown]
	ds_store_b16 v45, v39
	ds_store_b16 v45, v57 offset:6
	ds_store_b16 v45, v58 offset:12
	;; [unrolled: 1-line block ×5, first 2 shown]
	s_and_saveexec_b32 s1, s0
	s_cbranch_execz .LBB0_29
; %bb.28:
	v_and_b32_e32 v14, 0xffff, v41
	s_delay_alu instid0(VALU_DEP_1) | instskip(NEXT) | instid1(VALU_DEP_1)
	v_lshlrev_b32_e32 v14, 1, v14
	v_add3_u32 v14, 0, v42, v14
	ds_store_b16 v14, v10
	ds_store_b16 v14, v21 offset:6
	ds_store_b16 v14, v35 offset:12
	;; [unrolled: 1-line block ×5, first 2 shown]
.LBB0_29:
	s_wait_alu 0xfffe
	s_or_b32 exec_lo, exec_lo, s1
	global_wb scope:SCOPE_SE
	s_wait_dscnt 0x0
	s_barrier_signal -1
	s_barrier_wait -1
	global_inv scope:SCOPE_SE
	ds_load_u16 v18, v0
	ds_load_u16 v42, v0 offset:2304
	ds_load_u16 v40, v0 offset:1944
	;; [unrolled: 1-line block ×11, first 2 shown]
	s_and_saveexec_b32 s1, s0
	s_cbranch_execz .LBB0_31
; %bb.30:
	ds_load_u16 v21, v0 offset:1008
	ds_load_u16 v35, v0 offset:1584
	;; [unrolled: 1-line block ×6, first 2 shown]
.LBB0_31:
	s_wait_alu 0xfffe
	s_or_b32 exec_lo, exec_lo, s1
	v_mul_lo_u16 v15, v15, 57
	v_mul_lo_u16 v16, v16, 57
	v_mul_u32_u24_e32 v17, 0xe38f, v17
	s_delay_alu instid0(VALU_DEP_3) | instskip(NEXT) | instid1(VALU_DEP_3)
	v_lshrrev_b16 v15, 10, v15
	v_lshrrev_b16 v16, 10, v16
	s_delay_alu instid0(VALU_DEP_3) | instskip(NEXT) | instid1(VALU_DEP_3)
	v_lshrrev_b32_e32 v17, 20, v17
	v_mul_lo_u16 v39, v15, 18
	s_delay_alu instid0(VALU_DEP_3) | instskip(NEXT) | instid1(VALU_DEP_3)
	v_mul_lo_u16 v41, v16, 18
	v_mul_lo_u16 v51, v17, 18
	v_and_b32_e32 v15, 0xffff, v15
	v_and_b32_e32 v16, 0xffff, v16
	v_sub_nc_u16 v39, v8, v39
	v_sub_nc_u16 v7, v7, v41
	;; [unrolled: 1-line block ×3, first 2 shown]
	v_mul_u32_u24_e32 v15, 0xd8, v15
	v_mul_u32_u24_e32 v16, 0xd8, v16
	v_and_b32_e32 v39, 0xff, v39
	v_and_b32_e32 v7, 0xff, v7
	;; [unrolled: 1-line block ×3, first 2 shown]
	s_delay_alu instid0(VALU_DEP_3) | instskip(NEXT) | instid1(VALU_DEP_3)
	v_mul_u32_u24_e32 v41, 5, v39
	v_mul_u32_u24_e32 v51, 5, v7
	s_delay_alu instid0(VALU_DEP_3) | instskip(SKIP_1) | instid1(VALU_DEP_4)
	v_mul_u32_u24_e32 v52, 5, v13
	v_lshlrev_b32_e32 v7, 1, v7
	v_lshlrev_b32_e32 v41, 2, v41
	s_delay_alu instid0(VALU_DEP_4) | instskip(NEXT) | instid1(VALU_DEP_4)
	v_lshlrev_b32_e32 v51, 2, v51
	v_lshlrev_b32_e32 v52, 2, v52
	s_clause 0x5
	global_load_b128 v[63:66], v41, s[8:9] offset:60
	global_load_b32 v75, v41, s[8:9] offset:76
	global_load_b128 v[67:70], v51, s[8:9] offset:60
	global_load_b32 v76, v51, s[8:9] offset:76
	;; [unrolled: 2-line block ×3, first 2 shown]
	v_lshlrev_b32_e32 v51, 1, v39
	v_mul_lo_u16 v41, 0x6c, v17
	v_lshlrev_b32_e32 v39, 1, v13
	global_wb scope:SCOPE_SE
	s_wait_loadcnt_dscnt 0x0
	s_barrier_signal -1
	v_add3_u32 v52, 0, v15, v51
	v_add3_u32 v51, 0, v16, v7
	s_barrier_wait -1
	global_inv scope:SCOPE_SE
	v_lshrrev_b32_e32 v17, 16, v75
	v_lshrrev_b32_e32 v53, 16, v67
	;; [unrolled: 1-line block ×13, first 2 shown]
	v_mul_f16_e32 v83, v50, v7
	v_mul_f16_e32 v60, v34, v7
	;; [unrolled: 1-line block ×9, first 2 shown]
	v_lshrrev_b32_e32 v81, 16, v74
	v_lshrrev_b32_e32 v82, 16, v77
	v_mul_f16_e32 v88, v45, v53
	v_mul_f16_e32 v90, v40, v55
	;; [unrolled: 1-line block ×13, first 2 shown]
	v_fma_f16 v34, v34, v63, -v83
	v_fmac_f16_e32 v60, v50, v63
	v_fma_f16 v50, v32, v64, -v84
	v_fma_f16 v31, v31, v65, -v85
	v_fmac_f16_e32 v61, v47, v65
	v_fma_f16 v47, v26, v66, -v86
	v_fmac_f16_e32 v59, v49, v75
	v_fmac_f16_e32 v62, v48, v64
	v_fma_f16 v48, v33, v75, -v87
	v_mul_f16_e32 v13, v29, v53
	v_mul_f16_e32 v17, v27, v54
	;; [unrolled: 1-line block ×7, first 2 shown]
	v_fma_f16 v32, v29, v67, -v88
	v_fma_f16 v29, v25, v69, -v90
	v_fmac_f16_e32 v15, v40, v69
	v_fma_f16 v28, v28, v76, -v92
	v_fmac_f16_e32 v7, v44, v76
	v_fmac_f16_e32 v58, v42, v66
	v_fma_f16 v33, v27, v68, -v89
	v_fma_f16 v25, v30, v70, -v91
	;; [unrolled: 1-line block ×3, first 2 shown]
	v_fmac_f16_e32 v57, v35, v72
	v_fma_f16 v42, v22, v73, -v79
	v_add_f16_e32 v20, v50, v47
	v_add_f16_e32 v22, v34, v31
	;; [unrolled: 1-line block ×3, first 2 shown]
	v_fma_f16 v26, v23, v72, -v78
	v_add_f16_e32 v23, v31, v48
	v_mul_f16_e32 v53, v24, v82
	v_fmac_f16_e32 v13, v45, v67
	v_fmac_f16_e32 v16, v46, v70
	v_fma_f16 v27, v19, v74, -v80
	v_fma_f16 v24, v24, v77, -v81
	v_add_f16_e32 v19, v11, v50
	v_add_f16_e32 v44, v29, v28
	;; [unrolled: 1-line block ×3, first 2 shown]
	v_fmac_f16_e32 v17, v43, v68
	v_fmac_f16_e32 v56, v36, v73
	v_fmac_f16_e32 v54, v37, v74
	v_sub_f16_e32 v31, v31, v48
	v_add_f16_e32 v36, v12, v33
	v_add_f16_e32 v37, v33, v25
	;; [unrolled: 1-line block ×3, first 2 shown]
	v_fmac_f16_e32 v11, -0.5, v20
	v_add_f16_e32 v20, v22, v48
	v_fma_f16 v22, -0.5, v35, v60
	v_sub_f16_e32 v30, v61, v59
	v_fmac_f16_e32 v34, -0.5, v23
	v_fmac_f16_e32 v55, v21, v71
	v_fmac_f16_e32 v53, v38, v77
	v_sub_f16_e32 v21, v62, v58
	v_sub_f16_e32 v45, v15, v7
	;; [unrolled: 1-line block ×3, first 2 shown]
	v_add_f16_e32 v29, v42, v24
	v_add_f16_e32 v66, v19, v47
	v_fmac_f16_e32 v32, -0.5, v44
	v_fma_f16 v19, -0.5, v46, v13
	v_sub_f16_e32 v38, v17, v16
	v_add_f16_e32 v36, v36, v25
	v_fmac_f16_e32 v12, -0.5, v37
	v_add_f16_e32 v37, v43, v28
	v_fmamk_f16 v23, v31, 0xbaee, v22
	v_fmamk_f16 v35, v30, 0x3aee, v34
	v_fmac_f16_e32 v34, 0xbaee, v30
	v_sub_f16_e32 v63, v56, v53
	v_add_f16_e32 v64, v56, v53
	v_fma_f16 v28, -0.5, v29, v40
	v_fmamk_f16 v43, v21, 0x3aee, v11
	v_fmac_f16_e32 v11, 0xbaee, v21
	v_add_f16_e32 v44, v66, v20
	v_sub_f16_e32 v46, v66, v20
	v_fmamk_f16 v21, v45, 0x3aee, v32
	v_fmac_f16_e32 v32, 0xbaee, v45
	v_fmamk_f16 v20, v49, 0xbaee, v19
	v_fmamk_f16 v48, v38, 0x3aee, v12
	v_fmac_f16_e32 v12, 0xbaee, v38
	v_add_f16_e32 v38, v36, v37
	v_sub_f16_e32 v36, v36, v37
	v_mul_f16_e32 v37, 0x3aee, v23
	v_fmac_f16_e32 v22, 0x3aee, v31
	v_mul_f16_e32 v45, -0.5, v34
	v_sub_f16_e32 v65, v42, v24
	v_fma_f16 v29, -0.5, v64, v55
	v_fmac_f16_e32 v19, 0x3aee, v49
	v_fmamk_f16 v31, v63, 0x3aee, v28
	v_fmac_f16_e32 v28, 0xbaee, v63
	v_mul_f16_e32 v49, 0x3aee, v20
	v_mul_f16_e32 v63, -0.5, v32
	v_fmac_f16_e32 v37, 0.5, v35
	v_fmac_f16_e32 v45, 0x3aee, v22
	v_fmamk_f16 v30, v65, 0xbaee, v29
	v_fmac_f16_e32 v29, 0x3aee, v65
	v_fmac_f16_e32 v49, 0.5, v21
	v_fmac_f16_e32 v63, 0x3aee, v19
	v_add_f16_e32 v64, v43, v37
	v_add_f16_e32 v65, v11, v45
	v_sub_f16_e32 v37, v43, v37
	v_sub_f16_e32 v11, v11, v45
	v_add_f16_e32 v43, v48, v49
	v_add_f16_e32 v45, v12, v63
	v_sub_f16_e32 v48, v48, v49
	v_sub_f16_e32 v12, v12, v63
	ds_store_b16 v52, v44
	ds_store_b16 v52, v64 offset:36
	ds_store_b16 v52, v65 offset:72
	;; [unrolled: 1-line block ×5, first 2 shown]
	ds_store_b16 v51, v38
	ds_store_b16 v51, v43 offset:36
	ds_store_b16 v51, v45 offset:72
	;; [unrolled: 1-line block ×5, first 2 shown]
	s_and_saveexec_b32 s1, s0
	s_cbranch_execz .LBB0_33
; %bb.32:
	v_add_f16_e32 v11, v26, v27
	v_add_f16_e32 v38, v9, v26
	v_sub_f16_e32 v12, v57, v54
	v_mul_f16_e32 v37, 0x3aee, v30
	v_mul_f16_e32 v36, -0.5, v28
	v_fma_f16 v9, -0.5, v11, v9
	v_add_f16_e32 v11, v40, v42
	v_and_b32_e32 v40, 0xffff, v41
	v_add_f16_e32 v38, v38, v27
	v_fmac_f16_e32 v37, 0.5, v31
	v_fmamk_f16 v42, v12, 0xbaee, v9
	v_add_f16_e32 v11, v11, v24
	v_lshlrev_b32_e32 v24, 1, v40
	v_fmac_f16_e32 v9, 0x3aee, v12
	v_fmac_f16_e32 v36, 0x3aee, v29
	s_delay_alu instid0(VALU_DEP_4) | instskip(NEXT) | instid1(VALU_DEP_4)
	v_add_f16_e32 v40, v38, v11
	v_add3_u32 v24, 0, v39, v24
	s_delay_alu instid0(VALU_DEP_4) | instskip(NEXT) | instid1(VALU_DEP_4)
	v_add_f16_e32 v43, v9, v37
	v_sub_f16_e32 v12, v42, v36
	v_add_f16_e32 v36, v42, v36
	v_sub_f16_e32 v11, v38, v11
	v_sub_f16_e32 v9, v9, v37
	ds_store_b16 v24, v40
	ds_store_b16 v24, v43 offset:36
	ds_store_b16 v24, v36 offset:72
	ds_store_b16 v24, v11 offset:108
	ds_store_b16 v24, v9 offset:144
	ds_store_b16 v24, v12 offset:180
.LBB0_33:
	s_wait_alu 0xfffe
	s_or_b32 exec_lo, exec_lo, s1
	v_add_f16_e32 v9, v62, v58
	v_add_f16_e32 v11, v18, v62
	v_sub_f16_e32 v12, v50, v47
	v_add_f16_e32 v24, v60, v61
	v_mul_f16_e32 v35, 0xbaee, v35
	v_fmac_f16_e32 v18, -0.5, v9
	v_mul_f16_e32 v9, -0.5, v22
	v_add_f16_e32 v11, v11, v58
	v_add_f16_e32 v22, v24, v59
	v_fmac_f16_e32 v35, 0.5, v23
	v_fmamk_f16 v23, v12, 0xbaee, v18
	v_fmac_f16_e32 v18, 0x3aee, v12
	v_add_f16_e32 v12, v17, v16
	v_fmac_f16_e32 v9, 0xbaee, v34
	v_add_f16_e32 v34, v11, v22
	v_add_f16_e32 v17, v14, v17
	v_sub_f16_e32 v38, v11, v22
	v_fmac_f16_e32 v14, -0.5, v12
	v_sub_f16_e32 v11, v33, v25
	v_add_f16_e32 v12, v13, v15
	v_mul_f16_e32 v40, 0xbaee, v21
	v_mul_f16_e32 v42, -0.5, v19
	v_add_f16_e32 v36, v23, v35
	v_add_f16_e32 v37, v18, v9
	;; [unrolled: 1-line block ×3, first 2 shown]
	v_fmamk_f16 v43, v11, 0xbaee, v14
	v_fmac_f16_e32 v14, 0x3aee, v11
	v_add_f16_e32 v44, v12, v7
	v_fmac_f16_e32 v40, 0.5, v20
	v_fmac_f16_e32 v42, 0xbaee, v32
	v_sub_f16_e32 v32, v23, v35
	v_sub_f16_e32 v35, v18, v9
	global_wb scope:SCOPE_SE
	s_wait_dscnt 0x0
	s_barrier_signal -1
	s_barrier_wait -1
	global_inv scope:SCOPE_SE
	ds_load_u16 v13, v6 offset:648
	ds_load_u16 v9, v6 offset:864
	;; [unrolled: 1-line block ×3, first 2 shown]
	ds_load_u16 v7, v0
	ds_load_u16 v17, v0 offset:216
	ds_load_u16 v20, v0 offset:1296
	;; [unrolled: 1-line block ×12, first 2 shown]
	v_add_f16_e32 v45, v33, v44
	v_add_f16_e32 v46, v43, v40
	;; [unrolled: 1-line block ×3, first 2 shown]
	v_sub_f16_e32 v33, v33, v44
	v_sub_f16_e32 v40, v43, v40
	;; [unrolled: 1-line block ×3, first 2 shown]
	global_wb scope:SCOPE_SE
	s_wait_dscnt 0x0
	s_barrier_signal -1
	s_barrier_wait -1
	global_inv scope:SCOPE_SE
	ds_store_b16 v52, v34
	ds_store_b16 v52, v36 offset:36
	ds_store_b16 v52, v37 offset:72
	;; [unrolled: 1-line block ×5, first 2 shown]
	ds_store_b16 v51, v45
	ds_store_b16 v51, v46 offset:36
	ds_store_b16 v51, v47 offset:72
	;; [unrolled: 1-line block ×5, first 2 shown]
	s_and_saveexec_b32 s1, s0
	s_cbranch_execz .LBB0_35
; %bb.34:
	v_add_f16_e32 v14, v57, v54
	v_add_f16_e32 v32, v10, v57
	v_sub_f16_e32 v26, v26, v27
	v_add_f16_e32 v27, v55, v56
	v_mul_f16_e32 v29, -0.5, v29
	v_fmac_f16_e32 v10, -0.5, v14
	v_mul_f16_e32 v14, 0xbaee, v31
	v_and_b32_e32 v31, 0xffff, v41
	v_add_f16_e32 v32, v32, v54
	v_fmac_f16_e32 v29, 0xbaee, v28
	v_fmamk_f16 v33, v26, 0xbaee, v10
	v_fmac_f16_e32 v10, 0x3aee, v26
	v_add_f16_e32 v26, v27, v53
	v_lshlrev_b32_e32 v27, 1, v31
	v_fmac_f16_e32 v14, 0.5, v30
	s_delay_alu instid0(VALU_DEP_4) | instskip(NEXT) | instid1(VALU_DEP_4)
	v_add_f16_e32 v31, v10, v29
	v_add_f16_e32 v28, v32, v26
	s_delay_alu instid0(VALU_DEP_4) | instskip(NEXT) | instid1(VALU_DEP_4)
	v_add3_u32 v27, 0, v39, v27
	v_add_f16_e32 v30, v33, v14
	v_sub_f16_e32 v26, v32, v26
	v_sub_f16_e32 v14, v33, v14
	;; [unrolled: 1-line block ×3, first 2 shown]
	ds_store_b16 v27, v28
	ds_store_b16 v27, v30 offset:36
	ds_store_b16 v27, v31 offset:72
	;; [unrolled: 1-line block ×5, first 2 shown]
.LBB0_35:
	s_wait_alu 0xfffe
	s_or_b32 exec_lo, exec_lo, s1
	global_wb scope:SCOPE_SE
	s_wait_dscnt 0x0
	s_barrier_signal -1
	s_barrier_wait -1
	global_inv scope:SCOPE_SE
	s_and_saveexec_b32 s0, vcc_lo
	s_cbranch_execz .LBB0_37
; %bb.36:
	v_mul_u32_u24_e32 v8, 15, v8
	v_mul_lo_u32 v10, s2, v4
	v_lshlrev_b64_e32 v[1:2], 2, v[1:2]
	s_delay_alu instid0(VALU_DEP_3)
	v_lshlrev_b32_e32 v8, 2, v8
	s_clause 0x3
	global_load_b128 v[26:29], v8, s[8:9] offset:436
	global_load_b128 v[30:33], v8, s[8:9] offset:420
	;; [unrolled: 1-line block ×3, first 2 shown]
	global_load_b96 v[38:40], v8, s[8:9] offset:468
	v_mul_lo_u32 v8, s3, v3
	v_mad_co_u64_u32 v[3:4], null, s2, v3, 0
	ds_load_u16 v14, v0 offset:2592
	ds_load_u16 v41, v6 offset:432
	;; [unrolled: 1-line block ×7, first 2 shown]
	v_add3_u32 v4, v4, v10, v8
	ds_load_u16 v8, v0 offset:3024
	ds_load_u16 v10, v0 offset:2808
	;; [unrolled: 1-line block ×4, first 2 shown]
	v_mov_b32_e32 v6, 0
	ds_load_u16 v49, v0 offset:1728
	ds_load_u16 v50, v0 offset:1512
	v_lshlrev_b64_e32 v[3:4], 2, v[3:4]
	s_delay_alu instid0(VALU_DEP_1) | instskip(SKIP_1) | instid1(VALU_DEP_2)
	v_add_co_u32 v51, vcc_lo, s6, v3
	s_wait_alu 0xfffd
	v_add_co_ci_u32_e32 v52, vcc_lo, s7, v4, vcc_lo
	v_lshlrev_b64_e32 v[3:4], 2, v[5:6]
	s_delay_alu instid0(VALU_DEP_3)
	v_add_co_u32 v1, vcc_lo, v51, v1
	ds_load_u16 v5, v0 offset:1296
	ds_load_u16 v6, v0 offset:216
	ds_load_u16 v51, v0
	s_wait_alu 0xfffd
	v_add_co_ci_u32_e32 v2, vcc_lo, v52, v2, vcc_lo
	v_add_co_u32 v0, vcc_lo, v1, v3
	s_wait_alu 0xfffd
	s_delay_alu instid0(VALU_DEP_2)
	v_add_co_ci_u32_e32 v1, vcc_lo, v2, v4, vcc_lo
	s_wait_loadcnt 0x3
	v_lshrrev_b32_e32 v2, 16, v26
	v_lshrrev_b32_e32 v3, 16, v27
	v_lshrrev_b32_e32 v4, 16, v28
	v_lshrrev_b32_e32 v52, 16, v29
	s_wait_loadcnt 0x2
	v_lshrrev_b32_e32 v53, 16, v30
	v_lshrrev_b32_e32 v54, 16, v31
	v_lshrrev_b32_e32 v55, 16, v32
	v_lshrrev_b32_e32 v56, 16, v33
	;; [unrolled: 5-line block ×3, first 2 shown]
	s_wait_loadcnt 0x0
	v_lshrrev_b32_e32 v61, 16, v38
	v_lshrrev_b32_e32 v62, 16, v39
	;; [unrolled: 1-line block ×3, first 2 shown]
	s_wait_dscnt 0x4
	v_mul_f16_e32 v64, v49, v52
	v_mul_f16_e32 v65, v9, v56
	;; [unrolled: 1-line block ×9, first 2 shown]
	s_wait_dscnt 0x2
	v_mul_f16_e32 v3, v5, v3
	v_mul_f16_e32 v62, v8, v62
	s_wait_dscnt 0x1
	v_mul_f16_e32 v71, v6, v53
	v_mul_f16_e32 v72, v44, v57
	;; [unrolled: 1-line block ×19, first 2 shown]
	v_fma_f16 v24, v24, v29, -v64
	v_fmac_f16_e32 v65, v47, v33
	v_fmac_f16_e32 v66, v14, v37
	v_fma_f16 v14, v25, v31, -v67
	v_fma_f16 v23, v23, v35, -v68
	v_fmac_f16_e32 v69, v5, v27
	v_fmac_f16_e32 v70, v8, v39
	;; [unrolled: 1-line block ×4, first 2 shown]
	v_fma_f16 v3, v20, v27, -v3
	v_fma_f16 v5, v22, v39, -v62
	;; [unrolled: 1-line block ×4, first 2 shown]
	v_fmac_f16_e32 v73, v45, v26
	v_fmac_f16_e32 v74, v10, v38
	v_fma_f16 v10, v13, v32, -v75
	v_fma_f16 v13, v19, v36, -v76
	v_fmac_f16_e32 v77, v50, v28
	v_fmac_f16_e32 v78, v46, v40
	;; [unrolled: 1-line block ×4, first 2 shown]
	v_fma_f16 v4, v15, v28, -v4
	v_fma_f16 v15, v18, v40, -v63
	v_fmac_f16_e32 v53, v30, v6
	v_fmac_f16_e32 v57, v34, v44
	v_fma_f16 v2, v11, v26, -v2
	v_fma_f16 v6, v16, v38, -v61
	v_fmac_f16_e32 v52, v29, v49
	v_fma_f16 v9, v9, v33, -v56
	v_fma_f16 v11, v12, v37, -v60
	v_sub_f16_e32 v12, v7, v24
	v_sub_f16_e32 v16, v65, v66
	;; [unrolled: 1-line block ×14, first 2 shown]
	s_wait_dscnt 0x0
	v_sub_f16_e32 v25, v51, v52
	v_sub_f16_e32 v11, v9, v11
	;; [unrolled: 1-line block ×4, first 2 shown]
	v_add_f16_e32 v28, v20, v5
	v_sub_f16_e32 v29, v17, v21
	v_sub_f16_e32 v30, v13, v22
	v_add_f16_e32 v31, v23, v15
	v_add_f16_e32 v32, v24, v6
	;; [unrolled: 1-line block ×3, first 2 shown]
	v_fma_f16 v7, v7, 2.0, -v12
	v_fma_f16 v9, v9, 2.0, -v11
	;; [unrolled: 1-line block ×16, first 2 shown]
	v_fmamk_f16 v5, v27, 0x39a8, v26
	v_fmamk_f16 v35, v30, 0x39a8, v29
	;; [unrolled: 1-line block ×4, first 2 shown]
	v_fma_f16 v12, v12, 2.0, -v26
	v_fma_f16 v18, v18, 2.0, -v27
	;; [unrolled: 1-line block ×8, first 2 shown]
	v_sub_f16_e32 v9, v7, v9
	v_sub_f16_e32 v19, v11, v19
	;; [unrolled: 1-line block ×8, first 2 shown]
	v_fmac_f16_e32 v5, 0xb9a8, v28
	v_fmac_f16_e32 v35, 0xb9a8, v31
	;; [unrolled: 1-line block ×4, first 2 shown]
	v_fmamk_f16 v27, v18, 0xb9a8, v12
	v_fmamk_f16 v28, v13, 0xb9a8, v17
	;; [unrolled: 1-line block ×4, first 2 shown]
	v_sub_f16_e32 v38, v9, v19
	v_sub_f16_e32 v39, v2, v22
	v_add_f16_e32 v40, v21, v4
	v_add_f16_e32 v41, v3, v16
	v_fma_f16 v7, v7, 2.0, -v9
	v_fma_f16 v3, v14, 2.0, -v3
	;; [unrolled: 1-line block ×8, first 2 shown]
	v_fmac_f16_e32 v27, 0xb9a8, v20
	v_fmac_f16_e32 v28, 0xb9a8, v23
	;; [unrolled: 1-line block ×4, first 2 shown]
	v_fmamk_f16 v13, v35, 0x3b64, v5
	v_fmamk_f16 v20, v39, 0x39a8, v38
	;; [unrolled: 1-line block ×3, first 2 shown]
	v_fma_f16 v21, v21, 2.0, -v40
	v_fma_f16 v16, v16, 2.0, -v41
	v_sub_f16_e32 v3, v7, v3
	v_sub_f16_e32 v6, v14, v6
	;; [unrolled: 1-line block ×4, first 2 shown]
	v_fma_f16 v22, v32, 2.0, -v36
	v_fmamk_f16 v18, v36, 0x3b64, v37
	v_fma_f16 v9, v9, 2.0, -v38
	v_fma_f16 v2, v2, 2.0, -v39
	v_fmac_f16_e32 v13, 0xb61f, v36
	v_fmac_f16_e32 v20, 0xb9a8, v40
	;; [unrolled: 1-line block ×3, first 2 shown]
	v_fmamk_f16 v36, v21, 0xb9a8, v16
	v_sub_f16_e32 v39, v3, v6
	v_add_f16_e32 v40, v11, v4
	v_fma_f16 v12, v12, 2.0, -v27
	v_fma_f16 v17, v17, 2.0, -v28
	;; [unrolled: 1-line block ×11, first 2 shown]
	v_fmac_f16_e32 v18, 0x361f, v35
	v_fmamk_f16 v35, v2, 0xb9a8, v9
	v_fmac_f16_e32 v36, 0x39a8, v2
	v_fma_f16 v2, v3, 2.0, -v39
	v_fma_f16 v3, v11, 2.0, -v40
	v_fmamk_f16 v11, v17, 0xbb64, v12
	v_fmamk_f16 v15, v24, 0xbb64, v25
	v_fmamk_f16 v29, v19, 0xb61f, v10
	v_fmamk_f16 v32, v22, 0xb61f, v26
	v_fmamk_f16 v33, v28, 0x361f, v27
	v_fmamk_f16 v34, v30, 0x361f, v31
	v_sub_f16_e32 v4, v7, v4
	v_sub_f16_e32 v6, v8, v6
	v_fma_f16 v5, v5, 2.0, -v13
	v_fma_f16 v14, v37, 2.0, -v18
	v_fmac_f16_e32 v35, 0xb9a8, v21
	v_fmac_f16_e32 v11, 0xb61f, v24
	;; [unrolled: 1-line block ×7, first 2 shown]
	v_fma_f16 v7, v7, 2.0, -v4
	v_fma_f16 v8, v8, 2.0, -v6
	;; [unrolled: 1-line block ×4, first 2 shown]
	v_pack_b32_f16 v5, v5, v14
	v_fma_f16 v12, v12, 2.0, -v11
	v_fma_f16 v14, v25, 2.0, -v15
	;; [unrolled: 1-line block ×6, first 2 shown]
	v_pack_b32_f16 v20, v20, v23
	v_pack_b32_f16 v13, v13, v18
	v_fma_f16 v18, v27, 2.0, -v33
	v_fma_f16 v23, v31, 2.0, -v34
	v_pack_b32_f16 v7, v7, v8
	v_pack_b32_f16 v8, v9, v16
	;; [unrolled: 1-line block ×13, first 2 shown]
	s_clause 0xf
	global_store_b32 v[0:1], v7, off
	global_store_b32 v[0:1], v9, off offset:432
	global_store_b32 v[0:1], v8, off offset:864
	;; [unrolled: 1-line block ×15, first 2 shown]
.LBB0_37:
	s_nop 0
	s_sendmsg sendmsg(MSG_DEALLOC_VGPRS)
	s_endpgm
	.section	.rodata,"a",@progbits
	.p2align	6, 0x0
	.amdhsa_kernel fft_rtc_fwd_len1728_factors_3_6_6_16_wgs_108_tpt_108_halfLds_half_op_CI_CI_unitstride_sbrr_dirReg
		.amdhsa_group_segment_fixed_size 0
		.amdhsa_private_segment_fixed_size 0
		.amdhsa_kernarg_size 104
		.amdhsa_user_sgpr_count 2
		.amdhsa_user_sgpr_dispatch_ptr 0
		.amdhsa_user_sgpr_queue_ptr 0
		.amdhsa_user_sgpr_kernarg_segment_ptr 1
		.amdhsa_user_sgpr_dispatch_id 0
		.amdhsa_user_sgpr_private_segment_size 0
		.amdhsa_wavefront_size32 1
		.amdhsa_uses_dynamic_stack 0
		.amdhsa_enable_private_segment 0
		.amdhsa_system_sgpr_workgroup_id_x 1
		.amdhsa_system_sgpr_workgroup_id_y 0
		.amdhsa_system_sgpr_workgroup_id_z 0
		.amdhsa_system_sgpr_workgroup_info 0
		.amdhsa_system_vgpr_workitem_id 0
		.amdhsa_next_free_vgpr 94
		.amdhsa_next_free_sgpr 39
		.amdhsa_reserve_vcc 1
		.amdhsa_float_round_mode_32 0
		.amdhsa_float_round_mode_16_64 0
		.amdhsa_float_denorm_mode_32 3
		.amdhsa_float_denorm_mode_16_64 3
		.amdhsa_fp16_overflow 0
		.amdhsa_workgroup_processor_mode 1
		.amdhsa_memory_ordered 1
		.amdhsa_forward_progress 0
		.amdhsa_round_robin_scheduling 0
		.amdhsa_exception_fp_ieee_invalid_op 0
		.amdhsa_exception_fp_denorm_src 0
		.amdhsa_exception_fp_ieee_div_zero 0
		.amdhsa_exception_fp_ieee_overflow 0
		.amdhsa_exception_fp_ieee_underflow 0
		.amdhsa_exception_fp_ieee_inexact 0
		.amdhsa_exception_int_div_zero 0
	.end_amdhsa_kernel
	.text
.Lfunc_end0:
	.size	fft_rtc_fwd_len1728_factors_3_6_6_16_wgs_108_tpt_108_halfLds_half_op_CI_CI_unitstride_sbrr_dirReg, .Lfunc_end0-fft_rtc_fwd_len1728_factors_3_6_6_16_wgs_108_tpt_108_halfLds_half_op_CI_CI_unitstride_sbrr_dirReg
                                        ; -- End function
	.section	.AMDGPU.csdata,"",@progbits
; Kernel info:
; codeLenInByte = 9476
; NumSgprs: 41
; NumVgprs: 94
; ScratchSize: 0
; MemoryBound: 0
; FloatMode: 240
; IeeeMode: 1
; LDSByteSize: 0 bytes/workgroup (compile time only)
; SGPRBlocks: 5
; VGPRBlocks: 11
; NumSGPRsForWavesPerEU: 41
; NumVGPRsForWavesPerEU: 94
; Occupancy: 16
; WaveLimiterHint : 1
; COMPUTE_PGM_RSRC2:SCRATCH_EN: 0
; COMPUTE_PGM_RSRC2:USER_SGPR: 2
; COMPUTE_PGM_RSRC2:TRAP_HANDLER: 0
; COMPUTE_PGM_RSRC2:TGID_X_EN: 1
; COMPUTE_PGM_RSRC2:TGID_Y_EN: 0
; COMPUTE_PGM_RSRC2:TGID_Z_EN: 0
; COMPUTE_PGM_RSRC2:TIDIG_COMP_CNT: 0
	.text
	.p2alignl 7, 3214868480
	.fill 96, 4, 3214868480
	.type	__hip_cuid_641923b181fda6dd,@object ; @__hip_cuid_641923b181fda6dd
	.section	.bss,"aw",@nobits
	.globl	__hip_cuid_641923b181fda6dd
__hip_cuid_641923b181fda6dd:
	.byte	0                               ; 0x0
	.size	__hip_cuid_641923b181fda6dd, 1

	.ident	"AMD clang version 19.0.0git (https://github.com/RadeonOpenCompute/llvm-project roc-6.4.0 25133 c7fe45cf4b819c5991fe208aaa96edf142730f1d)"
	.section	".note.GNU-stack","",@progbits
	.addrsig
	.addrsig_sym __hip_cuid_641923b181fda6dd
	.amdgpu_metadata
---
amdhsa.kernels:
  - .args:
      - .actual_access:  read_only
        .address_space:  global
        .offset:         0
        .size:           8
        .value_kind:     global_buffer
      - .offset:         8
        .size:           8
        .value_kind:     by_value
      - .actual_access:  read_only
        .address_space:  global
        .offset:         16
        .size:           8
        .value_kind:     global_buffer
      - .actual_access:  read_only
        .address_space:  global
        .offset:         24
        .size:           8
        .value_kind:     global_buffer
      - .actual_access:  read_only
        .address_space:  global
        .offset:         32
        .size:           8
        .value_kind:     global_buffer
      - .offset:         40
        .size:           8
        .value_kind:     by_value
      - .actual_access:  read_only
        .address_space:  global
        .offset:         48
        .size:           8
        .value_kind:     global_buffer
      - .actual_access:  read_only
        .address_space:  global
        .offset:         56
        .size:           8
        .value_kind:     global_buffer
      - .offset:         64
        .size:           4
        .value_kind:     by_value
      - .actual_access:  read_only
        .address_space:  global
        .offset:         72
        .size:           8
        .value_kind:     global_buffer
      - .actual_access:  read_only
        .address_space:  global
        .offset:         80
        .size:           8
        .value_kind:     global_buffer
      - .actual_access:  read_only
        .address_space:  global
        .offset:         88
        .size:           8
        .value_kind:     global_buffer
      - .actual_access:  write_only
        .address_space:  global
        .offset:         96
        .size:           8
        .value_kind:     global_buffer
    .group_segment_fixed_size: 0
    .kernarg_segment_align: 8
    .kernarg_segment_size: 104
    .language:       OpenCL C
    .language_version:
      - 2
      - 0
    .max_flat_workgroup_size: 108
    .name:           fft_rtc_fwd_len1728_factors_3_6_6_16_wgs_108_tpt_108_halfLds_half_op_CI_CI_unitstride_sbrr_dirReg
    .private_segment_fixed_size: 0
    .sgpr_count:     41
    .sgpr_spill_count: 0
    .symbol:         fft_rtc_fwd_len1728_factors_3_6_6_16_wgs_108_tpt_108_halfLds_half_op_CI_CI_unitstride_sbrr_dirReg.kd
    .uniform_work_group_size: 1
    .uses_dynamic_stack: false
    .vgpr_count:     94
    .vgpr_spill_count: 0
    .wavefront_size: 32
    .workgroup_processor_mode: 1
amdhsa.target:   amdgcn-amd-amdhsa--gfx1201
amdhsa.version:
  - 1
  - 2
...

	.end_amdgpu_metadata
